;; amdgpu-corpus repo=zjin-lcf/HeCBench kind=compiled arch=gfx1100 opt=O3
	.text
	.amdgcn_target "amdgcn-amd-amdhsa--gfx1100"
	.amdhsa_code_object_version 6
	.protected	_Z17compute_biclusterPKfiiifPcS1_PfPiS3_S1_S1_ ; -- Begin function _Z17compute_biclusterPKfiiifPcS1_PfPiS3_S1_S1_
	.globl	_Z17compute_biclusterPKfiiifPcS1_PfPiS3_S1_S1_
	.p2align	8
	.type	_Z17compute_biclusterPKfiiifPcS1_PfPiS3_S1_S1_,@function
_Z17compute_biclusterPKfiiifPcS1_PfPiS3_S1_S1_: ; @_Z17compute_biclusterPKfiiifPcS1_PfPiS3_S1_S1_
; %bb.0:
	s_clause 0x1
	s_load_b32 s2, s[0:1], 0x5c
	s_load_b128 s[4:7], s[0:1], 0x8
	s_waitcnt lgkmcnt(0)
	s_and_b32 s2, s2, 0xffff
	s_delay_alu instid0(SALU_CYCLE_1) | instskip(SKIP_1) | instid1(VALU_DEP_1)
	v_mad_u64_u32 v[1:2], null, s15, s2, v[0:1]
	s_mov_b32 s2, exec_lo
	v_cmpx_gt_i32_e64 s5, v1
	s_cbranch_execz .LBB0_119
; %bb.1:
	s_load_b128 s[8:11], s[0:1], 0x28
	v_ashrrev_i32_e32 v2, 31, v1
	v_add_nc_u32_e32 v0, 1, v1
	v_mov_b32_e32 v6, 1.0
	v_mov_b32_e32 v32, 0
	s_delay_alu instid0(VALU_DEP_4) | instskip(SKIP_1) | instid1(VALU_DEP_1)
	v_lshlrev_b64 v[10:11], 2, v[1:2]
	s_waitcnt lgkmcnt(0)
	v_add_co_u32 v2, vcc_lo, s8, v10
	s_delay_alu instid0(VALU_DEP_2)
	v_add_co_ci_u32_e32 v3, vcc_lo, s9, v11, vcc_lo
	v_add_co_u32 v4, vcc_lo, s10, v10
	v_add_co_ci_u32_e32 v5, vcc_lo, s11, v11, vcc_lo
	v_cmp_gt_i32_e32 vcc_lo, s4, v0
	global_store_b32 v[2:3], v6, off
	global_store_b32 v[4:5], v32, off
	s_and_b32 exec_lo, exec_lo, vcc_lo
	s_cbranch_execz .LBB0_119
; %bb.2:
	s_add_i32 s5, s6, 1
	s_clause 0x1
	s_load_b64 s[12:13], s[0:1], 0x0
	s_load_b128 s[8:11], s[0:1], 0x18
	v_mul_lo_u32 v6, v1, s5
	s_load_b64 s[14:15], s[0:1], 0x48
	v_mul_lo_u32 v35, v1, s4
	s_load_b128 s[0:3], s[0:1], 0x38
	s_cmp_gt_i32 s6, 0
	v_mul_lo_u32 v13, v1, s6
	s_cselect_b32 s16, -1, 0
	s_delay_alu instid0(VALU_DEP_3) | instskip(SKIP_1) | instid1(VALU_DEP_3)
	v_dual_mov_b32 v36, 48 :: v_dual_add_nc_u32 v7, s6, v6
	s_cmp_gt_i32 s4, 0
	v_ashrrev_i32_e32 v23, 31, v35
	s_cselect_b32 s17, -1, 0
	s_cmp_lt_i32 s4, 1
	v_ashrrev_i32_e32 v8, 31, v7
	s_cselect_b32 s18, -1, 0
	s_cmp_lg_u32 s6, 1
	v_mul_lo_u32 v12, v0, s5
	s_cselect_b32 s19, -1, 0
	v_lshlrev_b64 v[7:8], 2, v[7:8]
	s_and_b32 s20, s6, 0x7ffffffe
	s_bitcmp1_b32 s6, 0
	s_mov_b32 s24, 0
	s_cselect_b32 s21, -1, 0
	s_waitcnt lgkmcnt(0)
	s_add_u32 s22, s12, 4
	v_add_co_u32 v7, vcc_lo, s12, v7
	v_add_co_ci_u32_e32 v8, vcc_lo, s13, v8, vcc_lo
	s_addc_u32 s23, s13, 0
                                        ; implicit-def: $vgpr37
	global_load_b32 v34, v[7:8], off
	v_add_nc_u32_e32 v7, v35, v1
	s_delay_alu instid0(VALU_DEP_1) | instskip(SKIP_2) | instid1(VALU_DEP_3)
	v_ashrrev_i32_e32 v9, 31, v7
	v_add_co_u32 v8, vcc_lo, s14, v7
	v_ashrrev_i32_e32 v7, 31, v6
	v_add_co_ci_u32_e32 v9, vcc_lo, s15, v9, vcc_lo
	v_add_co_u32 v10, vcc_lo, s0, v10
	s_delay_alu instid0(VALU_DEP_3) | instskip(SKIP_2) | instid1(VALU_DEP_3)
	v_lshlrev_b64 v[16:17], 2, v[6:7]
	v_add_co_ci_u32_e32 v11, vcc_lo, s1, v11, vcc_lo
	v_ashrrev_i32_e32 v7, 31, v13
	v_add_co_u32 v14, vcc_lo, s22, v16
	s_delay_alu instid0(VALU_DEP_4)
	v_add_co_ci_u32_e32 v15, vcc_lo, s23, v17, vcc_lo
	v_add_co_u32 v16, vcc_lo, s12, v16
	v_add_co_ci_u32_e32 v17, vcc_lo, s13, v17, vcc_lo
	v_add_co_u32 v18, vcc_lo, s2, v13
	;; [unrolled: 2-line block ×5, first 2 shown]
	v_add_co_ci_u32_e32 v25, vcc_lo, s9, v7, vcc_lo
	v_mov_b32_e32 v7, 49
	s_mov_b32 s3, 0
	s_branch .LBB0_4
.LBB0_3:                                ;   in Loop: Header=BB0_4 Depth=1
	v_add_nc_u32_e32 v0, 1, v0
	v_add_nc_u32_e32 v12, s5, v12
	s_delay_alu instid0(VALU_DEP_2) | instskip(SKIP_1) | instid1(SALU_CYCLE_1)
	v_cmp_le_i32_e32 vcc_lo, s4, v0
	s_or_b32 s24, vcc_lo, s24
	s_and_not1_b32 exec_lo, exec_lo, s24
	s_cbranch_execz .LBB0_119
.LBB0_4:                                ; =>This Loop Header: Depth=1
                                        ;     Child Loop BB0_9 Depth 2
                                        ;     Child Loop BB0_47 Depth 2
                                        ;       Child Loop BB0_56 Depth 3
                                        ;       Child Loop BB0_59 Depth 3
	;; [unrolled: 1-line block ×7, first 2 shown]
                                        ;         Child Loop BB0_86 Depth 4
                                        ;           Child Loop BB0_89 Depth 5
                                        ;           Child Loop BB0_92 Depth 5
	;; [unrolled: 1-line block ×4, first 2 shown]
                                        ;       Child Loop BB0_116 Depth 3
                                        ;       Child Loop BB0_118 Depth 3
	v_ashrrev_i32_e32 v13, 31, v12
	v_dual_mov_b32 v38, 0 :: v_dual_mov_b32 v39, 0
	s_and_not1_b32 vcc_lo, exec_lo, s16
	s_delay_alu instid0(VALU_DEP_2)
	v_lshlrev_b64 v[26:27], 2, v[12:13]
	v_mov_b32_e32 v13, 0
	s_cbranch_vccnz .LBB0_41
; %bb.5:                                ;   in Loop: Header=BB0_4 Depth=1
	v_mul_lo_u32 v40, v0, s5
	s_delay_alu instid0(VALU_DEP_1) | instskip(NEXT) | instid1(VALU_DEP_1)
	v_dual_mov_b32 v13, 0 :: v_dual_add_nc_u32 v28, s6, v40
	v_ashrrev_i32_e32 v29, 31, v28
	s_delay_alu instid0(VALU_DEP_1) | instskip(NEXT) | instid1(VALU_DEP_1)
	v_lshlrev_b64 v[28:29], 2, v[28:29]
	v_add_co_u32 v28, vcc_lo, s12, v28
	s_delay_alu instid0(VALU_DEP_2)
	v_add_co_ci_u32_e32 v29, vcc_lo, s13, v29, vcc_lo
	s_and_not1_b32 vcc_lo, exec_lo, s19
	global_load_b32 v33, v[28:29], off
	s_cbranch_vccnz .LBB0_28
; %bb.6:                                ;   in Loop: Header=BB0_4 Depth=1
	v_add_co_u32 v28, vcc_lo, s22, v26
	v_dual_mov_b32 v38, 0 :: v_dual_mov_b32 v31, v15
	v_add_co_ci_u32_e32 v29, vcc_lo, s23, v27, vcc_lo
	v_dual_mov_b32 v30, v14 :: v_dual_mov_b32 v39, 0
	v_mov_b32_e32 v13, 0
	s_mov_b32 s1, 0
	s_branch .LBB0_9
.LBB0_7:                                ;   in Loop: Header=BB0_9 Depth=2
	s_or_b32 exec_lo, exec_lo, s0
.LBB0_8:                                ;   in Loop: Header=BB0_9 Depth=2
	s_delay_alu instid0(SALU_CYCLE_1)
	s_or_b32 exec_lo, exec_lo, s2
	v_add_co_u32 v28, vcc_lo, v28, 8
	v_add_co_ci_u32_e32 v29, vcc_lo, 0, v29, vcc_lo
	v_add_co_u32 v30, vcc_lo, v30, 8
	v_add_co_ci_u32_e32 v31, vcc_lo, 0, v31, vcc_lo
	s_add_i32 s1, s1, 2
	s_delay_alu instid0(SALU_CYCLE_1)
	s_cmp_eq_u32 s20, s1
	s_cbranch_scc1 .LBB0_29
.LBB0_9:                                ;   Parent Loop BB0_4 Depth=1
                                        ; =>  This Inner Loop Header: Depth=2
	global_load_b32 v41, v[30:31], off offset:-4
	global_load_b32 v43, v[28:29], off offset:-4
	s_waitcnt vmcnt(0)
	v_dual_sub_f32 v41, v41, v34 :: v_dual_sub_f32 v42, v43, v33
	s_delay_alu instid0(VALU_DEP_1) | instskip(NEXT) | instid1(VALU_DEP_2)
	v_cmp_le_f32_e32 vcc_lo, 0, v41
	v_cmp_le_f32_e64 s0, 0, v42
	s_delay_alu instid0(VALU_DEP_1) | instskip(NEXT) | instid1(SALU_CYCLE_1)
	s_and_b32 s0, vcc_lo, s0
	s_and_saveexec_b32 s2, s0
	s_delay_alu instid0(SALU_CYCLE_1)
	s_xor_b32 s0, exec_lo, s2
	s_cbranch_execz .LBB0_11
; %bb.10:                               ;   in Loop: Header=BB0_9 Depth=2
	v_dual_mov_b32 v41, s1 :: v_dual_add_nc_u32 v38, 1, v38
                                        ; implicit-def: $vgpr43
                                        ; implicit-def: $vgpr42
	ds_store_b8 v41, v7 offset:1600
	ds_store_b8 v41, v36 offset:1603
	;; [unrolled: 1-line block ×3, first 2 shown]
                                        ; implicit-def: $vgpr41
.LBB0_11:                               ;   in Loop: Header=BB0_9 Depth=2
	s_and_not1_saveexec_b32 s2, s0
	s_cbranch_execz .LBB0_19
; %bb.12:                               ;   in Loop: Header=BB0_9 Depth=2
	v_cmp_ngt_f32_e32 vcc_lo, 0, v41
	v_cmp_nlt_f32_e64 s0, v43, v33
	s_delay_alu instid0(VALU_DEP_1) | instskip(NEXT) | instid1(SALU_CYCLE_1)
	s_or_b32 s0, vcc_lo, s0
	s_and_saveexec_b32 s8, s0
	s_delay_alu instid0(SALU_CYCLE_1)
	s_xor_b32 s0, exec_lo, s8
	s_cbranch_execz .LBB0_16
; %bb.13:                               ;   in Loop: Header=BB0_9 Depth=2
	v_mul_f32_e32 v41, v41, v42
	s_mov_b32 s8, exec_lo
	s_delay_alu instid0(VALU_DEP_1)
	v_cmpx_gt_f32_e32 0, v41
	s_cbranch_execz .LBB0_15
; %bb.14:                               ;   in Loop: Header=BB0_9 Depth=2
	v_mov_b32_e32 v41, s1
	v_add_nc_u32_e32 v39, 1, v39
	ds_store_b8 v41, v36 offset:1600
	ds_store_b8 v41, v36 offset:1603
	;; [unrolled: 1-line block ×3, first 2 shown]
.LBB0_15:                               ;   in Loop: Header=BB0_9 Depth=2
	s_or_b32 exec_lo, exec_lo, s8
.LBB0_16:                               ;   in Loop: Header=BB0_9 Depth=2
	s_and_not1_saveexec_b32 s0, s0
	s_cbranch_execz .LBB0_18
; %bb.17:                               ;   in Loop: Header=BB0_9 Depth=2
	v_mov_b32_e32 v41, s1
	v_add_nc_u32_e32 v13, 1, v13
	ds_store_b8 v41, v36 offset:1600
	ds_store_b8 v41, v7 offset:1603
	;; [unrolled: 1-line block ×3, first 2 shown]
.LBB0_18:                               ;   in Loop: Header=BB0_9 Depth=2
	s_or_b32 exec_lo, exec_lo, s0
.LBB0_19:                               ;   in Loop: Header=BB0_9 Depth=2
	s_delay_alu instid0(SALU_CYCLE_1) | instskip(SKIP_4) | instid1(VALU_DEP_1)
	s_or_b32 exec_lo, exec_lo, s2
	global_load_b32 v41, v[30:31], off
	global_load_b32 v43, v[28:29], off
	s_waitcnt vmcnt(0)
	v_dual_sub_f32 v41, v41, v34 :: v_dual_sub_f32 v42, v43, v33
	v_cmp_le_f32_e32 vcc_lo, 0, v41
	s_delay_alu instid0(VALU_DEP_2) | instskip(NEXT) | instid1(VALU_DEP_1)
	v_cmp_le_f32_e64 s0, 0, v42
	s_and_b32 s0, vcc_lo, s0
	s_delay_alu instid0(SALU_CYCLE_1) | instskip(NEXT) | instid1(SALU_CYCLE_1)
	s_and_saveexec_b32 s2, s0
	s_xor_b32 s0, exec_lo, s2
	s_cbranch_execz .LBB0_21
; %bb.20:                               ;   in Loop: Header=BB0_9 Depth=2
	v_dual_mov_b32 v41, s1 :: v_dual_add_nc_u32 v38, 1, v38
                                        ; implicit-def: $vgpr43
                                        ; implicit-def: $vgpr42
	ds_store_b8 v41, v7 offset:1601
	ds_store_b8 v41, v36 offset:1604
	;; [unrolled: 1-line block ×3, first 2 shown]
                                        ; implicit-def: $vgpr41
.LBB0_21:                               ;   in Loop: Header=BB0_9 Depth=2
	s_and_not1_saveexec_b32 s2, s0
	s_cbranch_execz .LBB0_8
; %bb.22:                               ;   in Loop: Header=BB0_9 Depth=2
	v_cmp_ngt_f32_e32 vcc_lo, 0, v41
	v_cmp_nlt_f32_e64 s0, v43, v33
	s_delay_alu instid0(VALU_DEP_1) | instskip(NEXT) | instid1(SALU_CYCLE_1)
	s_or_b32 s0, vcc_lo, s0
	s_and_saveexec_b32 s8, s0
	s_delay_alu instid0(SALU_CYCLE_1)
	s_xor_b32 s0, exec_lo, s8
	s_cbranch_execz .LBB0_26
; %bb.23:                               ;   in Loop: Header=BB0_9 Depth=2
	v_mul_f32_e32 v41, v41, v42
	s_mov_b32 s8, exec_lo
	s_delay_alu instid0(VALU_DEP_1)
	v_cmpx_gt_f32_e32 0, v41
	s_cbranch_execz .LBB0_25
; %bb.24:                               ;   in Loop: Header=BB0_9 Depth=2
	v_mov_b32_e32 v41, s1
	v_add_nc_u32_e32 v39, 1, v39
	ds_store_b8 v41, v36 offset:1601
	ds_store_b8 v41, v36 offset:1604
	ds_store_b8 v41, v7 offset:1607
.LBB0_25:                               ;   in Loop: Header=BB0_9 Depth=2
	s_or_b32 exec_lo, exec_lo, s8
.LBB0_26:                               ;   in Loop: Header=BB0_9 Depth=2
	s_and_not1_saveexec_b32 s0, s0
	s_cbranch_execz .LBB0_7
; %bb.27:                               ;   in Loop: Header=BB0_9 Depth=2
	v_mov_b32_e32 v41, s1
	v_add_nc_u32_e32 v13, 1, v13
	ds_store_b8 v41, v36 offset:1601
	ds_store_b8 v41, v7 offset:1604
	;; [unrolled: 1-line block ×3, first 2 shown]
	s_branch .LBB0_7
.LBB0_28:                               ;   in Loop: Header=BB0_4 Depth=1
	v_dual_mov_b32 v39, 0 :: v_dual_mov_b32 v38, 0
	s_mov_b32 s1, s3
	s_and_not1_b32 vcc_lo, exec_lo, s21
	s_cbranch_vccz .LBB0_30
	s_branch .LBB0_41
.LBB0_29:                               ;   in Loop: Header=BB0_4 Depth=1
	s_mov_b32 s1, s20
	s_and_not1_b32 vcc_lo, exec_lo, s21
	s_cbranch_vccnz .LBB0_41
.LBB0_30:                               ;   in Loop: Header=BB0_4 Depth=1
	v_add_nc_u32_e32 v28, s1, v6
	v_add_nc_u32_e32 v30, s1, v40
	s_delay_alu instid0(VALU_DEP_2) | instskip(NEXT) | instid1(VALU_DEP_2)
	v_ashrrev_i32_e32 v29, 31, v28
	v_ashrrev_i32_e32 v31, 31, v30
	s_delay_alu instid0(VALU_DEP_2) | instskip(NEXT) | instid1(VALU_DEP_2)
	v_lshlrev_b64 v[28:29], 2, v[28:29]
	v_lshlrev_b64 v[30:31], 2, v[30:31]
	s_delay_alu instid0(VALU_DEP_2) | instskip(NEXT) | instid1(VALU_DEP_3)
	v_add_co_u32 v28, vcc_lo, s12, v28
	v_add_co_ci_u32_e32 v29, vcc_lo, s13, v29, vcc_lo
	s_delay_alu instid0(VALU_DEP_3) | instskip(NEXT) | instid1(VALU_DEP_4)
	v_add_co_u32 v30, vcc_lo, s12, v30
	v_add_co_ci_u32_e32 v31, vcc_lo, s13, v31, vcc_lo
	s_clause 0x1
	global_load_b32 v28, v[28:29], off
	global_load_b32 v30, v[30:31], off
	s_waitcnt vmcnt(0)
	v_dual_sub_f32 v28, v28, v34 :: v_dual_sub_f32 v29, v30, v33
	s_delay_alu instid0(VALU_DEP_1) | instskip(NEXT) | instid1(VALU_DEP_2)
	v_cmp_le_f32_e32 vcc_lo, 0, v28
	v_cmp_le_f32_e64 s0, 0, v29
	s_delay_alu instid0(VALU_DEP_1) | instskip(NEXT) | instid1(SALU_CYCLE_1)
	s_and_b32 s0, vcc_lo, s0
	s_and_saveexec_b32 s2, s0
	s_delay_alu instid0(SALU_CYCLE_1)
	s_xor_b32 s0, exec_lo, s2
	s_cbranch_execz .LBB0_32
; %bb.31:                               ;   in Loop: Header=BB0_4 Depth=1
	v_mov_b32_e32 v28, s1
	v_add_nc_u32_e32 v38, 1, v38
                                        ; implicit-def: $vgpr30
                                        ; implicit-def: $vgpr33
                                        ; implicit-def: $vgpr29
	ds_store_b8 v28, v7 offset:1600
	ds_store_b8 v28, v36 offset:1603
	;; [unrolled: 1-line block ×3, first 2 shown]
                                        ; implicit-def: $vgpr28
.LBB0_32:                               ;   in Loop: Header=BB0_4 Depth=1
	s_and_not1_saveexec_b32 s2, s0
	s_cbranch_execz .LBB0_40
; %bb.33:                               ;   in Loop: Header=BB0_4 Depth=1
	v_cmp_ngt_f32_e32 vcc_lo, 0, v28
	v_cmp_nlt_f32_e64 s0, v30, v33
	s_delay_alu instid0(VALU_DEP_1) | instskip(NEXT) | instid1(SALU_CYCLE_1)
	s_or_b32 s0, vcc_lo, s0
	s_and_saveexec_b32 s8, s0
	s_delay_alu instid0(SALU_CYCLE_1)
	s_xor_b32 s0, exec_lo, s8
	s_cbranch_execz .LBB0_37
; %bb.34:                               ;   in Loop: Header=BB0_4 Depth=1
	v_mul_f32_e32 v28, v28, v29
	s_mov_b32 s8, exec_lo
	s_delay_alu instid0(VALU_DEP_1)
	v_cmpx_gt_f32_e32 0, v28
	s_cbranch_execz .LBB0_36
; %bb.35:                               ;   in Loop: Header=BB0_4 Depth=1
	v_dual_mov_b32 v28, s1 :: v_dual_add_nc_u32 v39, 1, v39
	ds_store_b8 v28, v36 offset:1600
	ds_store_b8 v28, v36 offset:1603
	;; [unrolled: 1-line block ×3, first 2 shown]
.LBB0_36:                               ;   in Loop: Header=BB0_4 Depth=1
	s_or_b32 exec_lo, exec_lo, s8
.LBB0_37:                               ;   in Loop: Header=BB0_4 Depth=1
	s_and_not1_saveexec_b32 s0, s0
	s_cbranch_execz .LBB0_39
; %bb.38:                               ;   in Loop: Header=BB0_4 Depth=1
	v_dual_mov_b32 v28, s1 :: v_dual_add_nc_u32 v13, 1, v13
	ds_store_b8 v28, v36 offset:1600
	ds_store_b8 v28, v7 offset:1603
	;; [unrolled: 1-line block ×3, first 2 shown]
.LBB0_39:                               ;   in Loop: Header=BB0_4 Depth=1
	s_or_b32 exec_lo, exec_lo, s0
.LBB0_40:                               ;   in Loop: Header=BB0_4 Depth=1
	s_delay_alu instid0(SALU_CYCLE_1)
	s_or_b32 exec_lo, exec_lo, s2
.LBB0_41:                               ;   in Loop: Header=BB0_4 Depth=1
	v_add_nc_u32_e32 v28, v0, v35
	s_delay_alu instid0(VALU_DEP_3) | instskip(NEXT) | instid1(VALU_DEP_4)
	v_add_co_u32 v26, vcc_lo, s12, v26
	v_add_co_ci_u32_e32 v27, vcc_lo, s13, v27, vcc_lo
	s_delay_alu instid0(VALU_DEP_3) | instskip(SKIP_3) | instid1(VALU_DEP_2)
	v_ashrrev_i32_e32 v29, 31, v28
	v_add_co_u32 v28, vcc_lo, s14, v28
	s_mov_b32 s25, 0
	s_movk_i32 s26, 0x640
	v_add_co_ci_u32_e32 v29, vcc_lo, s15, v29, vcc_lo
	s_branch .LBB0_47
.LBB0_42:                               ;   in Loop: Header=BB0_47 Depth=2
	v_mov_b32_e32 v32, v41
	global_store_b32 v[4:5], v41, off
	global_store_b32 v[10:11], v37, off
.LBB0_43:                               ;   in Loop: Header=BB0_47 Depth=2
	s_or_b32 exec_lo, exec_lo, s1
.LBB0_44:                               ;   in Loop: Header=BB0_47 Depth=2
	s_delay_alu instid0(SALU_CYCLE_1)
	s_or_b32 exec_lo, exec_lo, s0
.LBB0_45:                               ;   in Loop: Header=BB0_47 Depth=2
	s_delay_alu instid0(SALU_CYCLE_1)
	s_or_b32 exec_lo, exec_lo, s28
.LBB0_46:                               ;   in Loop: Header=BB0_47 Depth=2
	s_delay_alu instid0(SALU_CYCLE_1)
	s_or_b32 exec_lo, exec_lo, s27
	s_add_i32 s25, s25, 1
	s_addk_i32 s26, 0xc8
	s_cmp_eq_u32 s25, 3
	s_cbranch_scc1 .LBB0_3
.LBB0_47:                               ;   Parent Loop BB0_4 Depth=1
                                        ; =>  This Loop Header: Depth=2
                                        ;       Child Loop BB0_56 Depth 3
                                        ;       Child Loop BB0_59 Depth 3
	;; [unrolled: 1-line block ×7, first 2 shown]
                                        ;         Child Loop BB0_86 Depth 4
                                        ;           Child Loop BB0_89 Depth 5
                                        ;           Child Loop BB0_92 Depth 5
	;; [unrolled: 1-line block ×4, first 2 shown]
                                        ;       Child Loop BB0_116 Depth 3
                                        ;       Child Loop BB0_118 Depth 3
	v_mov_b32_e32 v30, v38
	s_cmp_lt_i32 s25, 1
	s_cbranch_scc1 .LBB0_53
; %bb.48:                               ;   in Loop: Header=BB0_47 Depth=2
	s_cmp_lg_u32 s25, 1
	s_cbranch_scc0 .LBB0_50
; %bb.49:                               ;   in Loop: Header=BB0_47 Depth=2
	s_cbranch_execz .LBB0_51
	s_branch .LBB0_52
.LBB0_50:                               ;   in Loop: Header=BB0_47 Depth=2
                                        ; implicit-def: $vgpr37
.LBB0_51:                               ;   in Loop: Header=BB0_47 Depth=2
	v_mov_b32_e32 v37, v13
.LBB0_52:                               ;   in Loop: Header=BB0_47 Depth=2
	s_delay_alu instid0(VALU_DEP_1)
	v_mov_b32_e32 v30, v37
.LBB0_53:                               ;   in Loop: Header=BB0_47 Depth=2
	s_cmp_eq_u32 s25, 2
	s_mov_b32 s27, exec_lo
	s_cselect_b32 vcc_lo, -1, 0
	s_delay_alu instid0(VALU_DEP_1) | instskip(NEXT) | instid1(VALU_DEP_1)
	v_cndmask_b32_e32 v37, v30, v39, vcc_lo
	v_cmpx_lt_i32_e32 10, v37
	s_cbranch_execz .LBB0_46
; %bb.54:                               ;   in Loop: Header=BB0_47 Depth=2
	v_dual_mov_b32 v42, 0 :: v_dual_mov_b32 v43, 0
	s_and_not1_b32 vcc_lo, exec_lo, s16
	s_cbranch_vccnz .LBB0_57
; %bb.55:                               ;   in Loop: Header=BB0_47 Depth=2
	v_dual_mov_b32 v42, 0 :: v_dual_mov_b32 v31, v17
	v_dual_mov_b32 v30, v16 :: v_dual_mov_b32 v43, 0
	s_movk_i32 s1, 0x320
	s_mov_b32 s2, s6
	s_mov_b32 s8, s26
	.p2align	6
.LBB0_56:                               ;   Parent Loop BB0_4 Depth=1
                                        ;     Parent Loop BB0_47 Depth=2
                                        ; =>    This Inner Loop Header: Depth=3
	global_load_b32 v33, v[30:31], off
	v_dual_mov_b32 v40, s8 :: v_dual_mov_b32 v41, s1
	v_add_co_u32 v30, s0, v30, 4
	s_delay_alu instid0(VALU_DEP_1)
	v_add_co_ci_u32_e64 v31, s0, 0, v31, s0
	ds_load_u8 v40, v40
	s_add_i32 s2, s2, -1
	s_add_i32 s8, s8, 1
	s_add_i32 s1, s1, 4
	s_cmp_lg_u32 s2, 0
	s_waitcnt lgkmcnt(0)
	v_cmp_eq_u16_e32 vcc_lo, 49, v40
	s_waitcnt vmcnt(0)
	v_add_f32_e32 v44, v43, v33
	v_add_f32_e32 v40, v42, v33
	ds_store_b32 v41, v33
	v_dual_cndmask_b32 v43, v43, v44 :: v_dual_cndmask_b32 v42, v40, v42
	s_cbranch_scc1 .LBB0_56
.LBB0_57:                               ;   in Loop: Header=BB0_47 Depth=2
	v_sub_nc_u32_e32 v30, s6, v37
	s_waitcnt vmcnt(0)
	v_cvt_f32_u32_e32 v33, v37
	s_delay_alu instid0(VALU_DEP_2) | instskip(NEXT) | instid1(VALU_DEP_2)
	v_cvt_f32_i32_e32 v40, v30
	v_div_scale_f32 v30, null, v33, v33, v43
	v_div_scale_f32 v47, vcc_lo, v43, v33, v43
	s_delay_alu instid0(VALU_DEP_3) | instskip(NEXT) | instid1(VALU_DEP_3)
	v_div_scale_f32 v31, null, v40, v40, v42
	v_rcp_f32_e32 v41, v30
	s_delay_alu instid0(VALU_DEP_1) | instskip(SKIP_3) | instid1(VALU_DEP_2)
	v_rcp_f32_e32 v44, v31
	s_waitcnt_depctr 0xfff
	v_fma_f32 v45, -v30, v41, 1.0
	v_fma_f32 v46, -v31, v44, 1.0
	v_fmac_f32_e32 v41, v45, v41
	v_div_scale_f32 v45, s0, v42, v40, v42
	s_delay_alu instid0(VALU_DEP_3) | instskip(NEXT) | instid1(VALU_DEP_3)
	v_fmac_f32_e32 v44, v46, v44
	v_mul_f32_e32 v46, v47, v41
	s_delay_alu instid0(VALU_DEP_2) | instskip(NEXT) | instid1(VALU_DEP_2)
	v_mul_f32_e32 v48, v45, v44
	v_fma_f32 v49, -v30, v46, v47
	s_delay_alu instid0(VALU_DEP_2) | instskip(NEXT) | instid1(VALU_DEP_2)
	v_fma_f32 v50, -v31, v48, v45
	v_fmac_f32_e32 v46, v49, v41
	s_delay_alu instid0(VALU_DEP_2) | instskip(NEXT) | instid1(VALU_DEP_2)
	v_fmac_f32_e32 v48, v50, v44
	v_fma_f32 v30, -v30, v46, v47
	s_delay_alu instid0(VALU_DEP_2) | instskip(NEXT) | instid1(VALU_DEP_2)
	v_fma_f32 v31, -v31, v48, v45
	v_div_fmas_f32 v30, v30, v41, v46
	v_mov_b32_e32 v41, 0
	s_mov_b32 vcc_lo, s0
	s_mov_b32 s0, 0
	v_div_fmas_f32 v31, v31, v44, v48
	v_div_fixup_f32 v43, v30, v33, v43
	s_and_not1_b32 vcc_lo, exec_lo, s16
	s_delay_alu instid0(VALU_DEP_2)
	v_div_fixup_f32 v44, v31, v40, v42
	v_mov_b32_e32 v42, 0
	s_cbranch_vccnz .LBB0_60
; %bb.58:                               ;   in Loop: Header=BB0_47 Depth=2
	v_dual_mov_b32 v41, 0 :: v_dual_mov_b32 v42, 0
	s_movk_i32 s1, 0x320
	.p2align	6
.LBB0_59:                               ;   Parent Loop BB0_4 Depth=1
                                        ;     Parent Loop BB0_47 Depth=2
                                        ; =>    This Inner Loop Header: Depth=3
	s_add_i32 s2, s26, s0
	s_delay_alu instid0(SALU_CYCLE_1)
	v_dual_mov_b32 v30, s1 :: v_dual_mov_b32 v31, s2
	s_add_i32 s0, s0, 1
	s_add_i32 s1, s1, 4
	s_cmp_eq_u32 s6, s0
	ds_load_b32 v30, v30
	ds_load_u8 v31, v31
	s_waitcnt lgkmcnt(1)
	v_sub_f32_e32 v45, v43, v30
	v_sub_f32_e32 v30, v44, v30
	s_waitcnt lgkmcnt(0)
	v_cmp_eq_u16_e32 vcc_lo, 49, v31
	s_delay_alu instid0(VALU_DEP_3) | instskip(NEXT) | instid1(VALU_DEP_3)
	v_fma_f32 v45, v45, v45, v42
	v_fma_f32 v30, v30, v30, v41
	s_delay_alu instid0(VALU_DEP_2) | instskip(NEXT) | instid1(VALU_DEP_2)
	v_cndmask_b32_e32 v42, v42, v45, vcc_lo
	v_cndmask_b32_e32 v41, v30, v41, vcc_lo
	s_cbranch_scc0 .LBB0_59
.LBB0_60:                               ;   in Loop: Header=BB0_47 Depth=2
	v_dual_mov_b32 v49, 0 :: v_dual_mov_b32 v50, 0
	s_and_not1_b32 vcc_lo, exec_lo, s16
	s_mov_b32 s1, 0
	s_cbranch_vccnz .LBB0_63
; %bb.61:                               ;   in Loop: Header=BB0_47 Depth=2
	v_dual_mov_b32 v31, v27 :: v_dual_mov_b32 v50, 0
	v_dual_mov_b32 v49, 0 :: v_dual_mov_b32 v30, v26
	s_mov_b32 s2, 0
	.p2align	6
.LBB0_62:                               ;   Parent Loop BB0_4 Depth=1
                                        ;     Parent Loop BB0_47 Depth=2
                                        ; =>    This Inner Loop Header: Depth=3
	global_load_b32 v45, v[30:31], off
	s_add_i32 s0, s26, s2
	s_delay_alu instid0(SALU_CYCLE_1) | instskip(SKIP_1) | instid1(VALU_DEP_1)
	v_dual_mov_b32 v47, s1 :: v_dual_mov_b32 v46, s0
	v_add_co_u32 v30, s0, v30, 4
	v_add_co_ci_u32_e64 v31, s0, 0, v31, s0
	ds_load_u8 v46, v46
	s_add_i32 s2, s2, 1
	s_add_i32 s1, s1, 4
	s_cmp_lg_u32 s6, s2
	s_waitcnt lgkmcnt(0)
	v_cmp_eq_u16_e32 vcc_lo, 49, v46
	s_waitcnt vmcnt(0)
	v_add_f32_e32 v48, v50, v45
	v_add_f32_e32 v46, v49, v45
	ds_store_b32 v47, v45
	v_cndmask_b32_e32 v50, v50, v48, vcc_lo
	v_cndmask_b32_e32 v49, v46, v49, vcc_lo
	s_cbranch_scc1 .LBB0_62
.LBB0_63:                               ;   in Loop: Header=BB0_47 Depth=2
	v_dual_mov_b32 v46, 0 :: v_dual_mov_b32 v45, 0
	v_dual_mov_b32 v48, 0 :: v_dual_mov_b32 v47, 0
	s_and_not1_b32 vcc_lo, exec_lo, s16
	s_mov_b32 s1, 0
	s_cbranch_vccnz .LBB0_71
; %bb.64:                               ;   in Loop: Header=BB0_47 Depth=2
	v_div_scale_f32 v30, null, v33, v33, v50
	v_div_scale_f32 v31, null, v40, v40, v49
	v_div_scale_f32 v51, vcc_lo, v50, v33, v50
	s_delay_alu instid0(VALU_DEP_3) | instskip(NEXT) | instid1(VALU_DEP_2)
	v_rcp_f32_e32 v45, v30
	v_rcp_f32_e32 v46, v31
	s_waitcnt_depctr 0xfff
	v_fma_f32 v47, -v30, v45, 1.0
	v_fma_f32 v48, -v31, v46, 1.0
	s_delay_alu instid0(VALU_DEP_1) | instskip(SKIP_1) | instid1(VALU_DEP_2)
	v_dual_fmac_f32 v45, v47, v45 :: v_dual_fmac_f32 v46, v48, v46
	v_div_scale_f32 v47, s0, v49, v40, v49
	v_mul_f32_e32 v48, v51, v45
	s_delay_alu instid0(VALU_DEP_2) | instskip(NEXT) | instid1(VALU_DEP_2)
	v_mul_f32_e32 v52, v47, v46
	v_fma_f32 v53, -v30, v48, v51
	s_delay_alu instid0(VALU_DEP_2) | instskip(NEXT) | instid1(VALU_DEP_2)
	v_fma_f32 v54, -v31, v52, v47
	v_fmac_f32_e32 v48, v53, v45
	s_delay_alu instid0(VALU_DEP_2) | instskip(NEXT) | instid1(VALU_DEP_2)
	v_fmac_f32_e32 v52, v54, v46
	v_fma_f32 v30, -v30, v48, v51
	v_mov_b32_e32 v51, 0
	s_delay_alu instid0(VALU_DEP_3) | instskip(SKIP_1) | instid1(VALU_DEP_4)
	v_fma_f32 v31, -v31, v52, v47
	v_mov_b32_e32 v47, 0
	v_div_fmas_f32 v30, v30, v45, v48
	s_mov_b32 vcc_lo, s0
	v_mov_b32_e32 v48, 0
	v_div_fmas_f32 v31, v31, v46, v52
	v_mov_b32_e32 v52, 0
	v_div_fixup_f32 v50, v30, v33, v50
	s_mov_b32 s0, 0
	s_delay_alu instid0(VALU_DEP_3)
	v_div_fixup_f32 v49, v31, v40, v49
	s_set_inst_prefetch_distance 0x1
	.p2align	6
.LBB0_65:                               ;   Parent Loop BB0_4 Depth=1
                                        ;     Parent Loop BB0_47 Depth=2
                                        ; =>    This Inner Loop Header: Depth=3
	s_add_i32 s2, s26, s0
	s_waitcnt lgkmcnt(0)
	v_mov_b32_e32 v30, s2
	ds_load_u8 v45, v30
	v_mov_b32_e32 v30, s1
	ds_load_2addr_b32 v[30:31], v30 offset1:200
	s_waitcnt lgkmcnt(1)
	v_cmp_ne_u16_e32 vcc_lo, 49, v45
	s_cbranch_vccz .LBB0_67
; %bb.66:                               ;   in Loop: Header=BB0_65 Depth=3
	s_waitcnt lgkmcnt(0)
	v_dual_sub_f32 v45, v44, v31 :: v_dual_sub_f32 v46, v49, v30
	s_delay_alu instid0(VALU_DEP_1)
	v_fma_f32 v45, v45, v46, v52
	v_fma_f32 v46, v46, v46, v51
	s_cbranch_execz .LBB0_68
	s_branch .LBB0_69
	.p2align	6
.LBB0_67:                               ;   in Loop: Header=BB0_65 Depth=3
                                        ; implicit-def: $vgpr46
                                        ; implicit-def: $vgpr45
.LBB0_68:                               ;   in Loop: Header=BB0_65 Depth=3
	s_waitcnt lgkmcnt(0)
	v_dual_sub_f32 v31, v43, v31 :: v_dual_sub_f32 v30, v50, v30
	v_dual_mov_b32 v45, v52 :: v_dual_mov_b32 v46, v51
	s_delay_alu instid0(VALU_DEP_2) | instskip(NEXT) | instid1(VALU_DEP_3)
	v_fmac_f32_e32 v48, v30, v30
	v_fmac_f32_e32 v47, v31, v30
.LBB0_69:                               ;   in Loop: Header=BB0_65 Depth=3
	s_add_i32 s0, s0, 1
	s_add_i32 s1, s1, 4
	s_cmp_lg_u32 s6, s0
	s_cbranch_scc0 .LBB0_71
; %bb.70:                               ;   in Loop: Header=BB0_65 Depth=3
	v_dual_mov_b32 v51, v46 :: v_dual_mov_b32 v52, v45
	s_branch .LBB0_65
.LBB0_71:                               ;   in Loop: Header=BB0_47 Depth=2
	s_set_inst_prefetch_distance 0x2
	s_waitcnt lgkmcnt(0)
	v_dual_mul_f32 v30, 0x4f800000, v42 :: v_dual_mul_f32 v31, 0x4f800000, v48
	v_cmp_gt_f32_e32 vcc_lo, 0xf800000, v42
	v_cmp_gt_f32_e64 s0, 0xf800000, v48
	s_mov_b32 s28, exec_lo
	s_delay_alu instid0(VALU_DEP_1) | instskip(SKIP_1) | instid1(VALU_DEP_2)
	v_cndmask_b32_e64 v31, v48, v31, s0
	v_cndmask_b32_e32 v30, v42, v30, vcc_lo
	v_sqrt_f32_e32 v43, v31
	s_delay_alu instid0(VALU_DEP_1)
	v_sqrt_f32_e32 v42, v30
	s_waitcnt_depctr 0xfff
	v_add_nc_u32_e32 v48, -1, v43
	v_add_nc_u32_e32 v44, -1, v42
	v_add_nc_u32_e32 v49, 1, v42
	v_add_nc_u32_e32 v50, 1, v43
	s_delay_alu instid0(VALU_DEP_4) | instskip(NEXT) | instid1(VALU_DEP_4)
	v_fma_f32 v52, -v48, v43, v31
	v_fma_f32 v51, -v44, v42, v30
	s_delay_alu instid0(VALU_DEP_4) | instskip(NEXT) | instid1(VALU_DEP_4)
	v_fma_f32 v53, -v49, v42, v30
	v_fma_f32 v54, -v50, v43, v31
	s_delay_alu instid0(VALU_DEP_3) | instskip(NEXT) | instid1(VALU_DEP_1)
	v_cmp_ge_f32_e64 s1, 0, v51
	v_cndmask_b32_e64 v42, v42, v44, s1
	v_cmp_ge_f32_e64 s1, 0, v52
	s_delay_alu instid0(VALU_DEP_1) | instskip(SKIP_1) | instid1(VALU_DEP_1)
	v_cndmask_b32_e64 v43, v43, v48, s1
	v_cmp_lt_f32_e64 s1, 0, v53
	v_cndmask_b32_e64 v42, v42, v49, s1
	v_cmp_lt_f32_e64 s1, 0, v54
	s_delay_alu instid0(VALU_DEP_2) | instskip(NEXT) | instid1(VALU_DEP_2)
	v_mul_f32_e32 v44, 0x37800000, v42
	v_cndmask_b32_e64 v43, v43, v50, s1
	s_delay_alu instid0(VALU_DEP_2) | instskip(NEXT) | instid1(VALU_DEP_2)
	v_cndmask_b32_e32 v42, v42, v44, vcc_lo
	v_mul_f32_e32 v48, 0x37800000, v43
	v_cmp_class_f32_e64 vcc_lo, v30, 0x260
	s_delay_alu instid0(VALU_DEP_2) | instskip(NEXT) | instid1(VALU_DEP_4)
	v_cndmask_b32_e64 v43, v43, v48, s0
	v_cndmask_b32_e32 v30, v42, v30, vcc_lo
	v_cmp_class_f32_e64 vcc_lo, v31, 0x260
	s_delay_alu instid0(VALU_DEP_3) | instskip(NEXT) | instid1(VALU_DEP_1)
	v_cndmask_b32_e32 v31, v43, v31, vcc_lo
	v_mul_f32_e32 v30, v30, v31
	s_delay_alu instid0(VALU_DEP_1) | instskip(NEXT) | instid1(VALU_DEP_1)
	v_div_scale_f32 v31, null, v30, v30, v47
	v_rcp_f32_e32 v42, v31
	s_waitcnt_depctr 0xfff
	v_fma_f32 v43, -v31, v42, 1.0
	s_delay_alu instid0(VALU_DEP_1) | instskip(SKIP_1) | instid1(VALU_DEP_1)
	v_fmac_f32_e32 v42, v43, v42
	v_div_scale_f32 v43, vcc_lo, v47, v30, v47
	v_mul_f32_e32 v44, v43, v42
	s_delay_alu instid0(VALU_DEP_1) | instskip(NEXT) | instid1(VALU_DEP_1)
	v_fma_f32 v48, -v31, v44, v43
	v_fmac_f32_e32 v44, v48, v42
	s_delay_alu instid0(VALU_DEP_1) | instskip(NEXT) | instid1(VALU_DEP_1)
	v_fma_f32 v31, -v31, v44, v43
	v_div_fmas_f32 v31, v31, v42, v44
	s_delay_alu instid0(VALU_DEP_1) | instskip(NEXT) | instid1(VALU_DEP_1)
	v_div_fixup_f32 v30, v31, v30, v47
	v_cmpx_gt_f32_e64 |v30|, s7
	s_cbranch_execz .LBB0_45
; %bb.72:                               ;   in Loop: Header=BB0_47 Depth=2
	s_and_not1_b32 vcc_lo, exec_lo, s16
	s_cbranch_vccnz .LBB0_75
; %bb.73:                               ;   in Loop: Header=BB0_47 Depth=2
	v_dual_mov_b32 v31, v19 :: v_dual_mov_b32 v30, v18
	s_mov_b32 s0, 0
.LBB0_74:                               ;   Parent Loop BB0_4 Depth=1
                                        ;     Parent Loop BB0_47 Depth=2
                                        ; =>    This Inner Loop Header: Depth=3
	s_delay_alu instid0(SALU_CYCLE_1)
	s_add_i32 s1, s26, s0
	s_add_i32 s0, s0, 1
	v_mov_b32_e32 v42, s1
	s_cmp_eq_u32 s6, s0
	ds_load_u8 v42, v42
	s_waitcnt lgkmcnt(0)
	global_store_b8 v[30:31], v42, off
	v_add_co_u32 v30, vcc_lo, v30, 1
	v_add_co_ci_u32_e32 v31, vcc_lo, 0, v31, vcc_lo
	s_cbranch_scc0 .LBB0_74
.LBB0_75:                               ;   in Loop: Header=BB0_47 Depth=2
	v_dual_mul_f32 v30, 0x4f800000, v41 :: v_dual_mul_f32 v31, 0x4f800000, v46
	v_cmp_gt_f32_e32 vcc_lo, 0xf800000, v41
	v_cmp_gt_f32_e64 s0, 0xf800000, v46
	s_delay_alu instid0(VALU_DEP_3) | instskip(NEXT) | instid1(VALU_DEP_2)
	v_cndmask_b32_e32 v30, v41, v30, vcc_lo
	v_cndmask_b32_e64 v31, v46, v31, s0
	s_delay_alu instid0(VALU_DEP_2) | instskip(NEXT) | instid1(VALU_DEP_1)
	v_sqrt_f32_e32 v41, v30
	v_sqrt_f32_e32 v42, v31
	s_waitcnt_depctr 0xfff
	v_add_nc_u32_e32 v43, -1, v41
	v_add_nc_u32_e32 v44, -1, v42
	v_add_nc_u32_e32 v46, 1, v41
	v_add_nc_u32_e32 v47, 1, v42
	s_delay_alu instid0(VALU_DEP_4) | instskip(NEXT) | instid1(VALU_DEP_4)
	v_fma_f32 v48, -v43, v41, v30
	v_fma_f32 v49, -v44, v42, v31
	s_delay_alu instid0(VALU_DEP_4) | instskip(NEXT) | instid1(VALU_DEP_4)
	v_fma_f32 v50, -v46, v41, v30
	v_fma_f32 v51, -v47, v42, v31
	s_delay_alu instid0(VALU_DEP_4) | instskip(NEXT) | instid1(VALU_DEP_1)
	v_cmp_ge_f32_e64 s1, 0, v48
	v_cndmask_b32_e64 v41, v41, v43, s1
	v_cmp_ge_f32_e64 s1, 0, v49
	s_delay_alu instid0(VALU_DEP_1) | instskip(SKIP_1) | instid1(VALU_DEP_1)
	v_cndmask_b32_e64 v42, v42, v44, s1
	v_cmp_lt_f32_e64 s1, 0, v50
	v_cndmask_b32_e64 v41, v41, v46, s1
	v_cmp_lt_f32_e64 s1, 0, v51
	s_delay_alu instid0(VALU_DEP_2) | instskip(NEXT) | instid1(VALU_DEP_2)
	v_mul_f32_e32 v43, 0x37800000, v41
	v_cndmask_b32_e64 v42, v42, v47, s1
	s_delay_alu instid0(VALU_DEP_2) | instskip(SKIP_1) | instid1(VALU_DEP_2)
	v_cndmask_b32_e32 v41, v41, v43, vcc_lo
	v_cmp_class_f32_e64 vcc_lo, v30, 0x260
	v_cndmask_b32_e32 v30, v41, v30, vcc_lo
	v_cmp_class_f32_e64 vcc_lo, v31, 0x260
	v_mul_f32_e32 v44, 0x37800000, v42
	s_delay_alu instid0(VALU_DEP_1) | instskip(NEXT) | instid1(VALU_DEP_1)
	v_cndmask_b32_e64 v42, v42, v44, s0
	v_cndmask_b32_e32 v31, v42, v31, vcc_lo
	s_delay_alu instid0(VALU_DEP_1) | instskip(NEXT) | instid1(VALU_DEP_1)
	v_mul_f32_e32 v30, v30, v31
	v_div_scale_f32 v31, null, v30, v30, v45
	v_div_scale_f32 v43, vcc_lo, v45, v30, v45
	s_delay_alu instid0(VALU_DEP_2) | instskip(SKIP_2) | instid1(VALU_DEP_1)
	v_rcp_f32_e32 v41, v31
	s_waitcnt_depctr 0xfff
	v_fma_f32 v42, -v31, v41, 1.0
	v_fmac_f32_e32 v41, v42, v41
	s_delay_alu instid0(VALU_DEP_1) | instskip(NEXT) | instid1(VALU_DEP_1)
	v_mul_f32_e32 v42, v43, v41
	v_fma_f32 v44, -v31, v42, v43
	s_delay_alu instid0(VALU_DEP_1) | instskip(NEXT) | instid1(VALU_DEP_1)
	v_fmac_f32_e32 v42, v44, v41
	v_fma_f32 v31, -v31, v42, v43
	s_delay_alu instid0(VALU_DEP_1) | instskip(SKIP_1) | instid1(VALU_DEP_1)
	v_div_fmas_f32 v31, v31, v41, v42
	s_and_b32 vcc_lo, exec_lo, s18
	v_div_fixup_f32 v30, v31, v30, v45
	s_delay_alu instid0(VALU_DEP_1) | instskip(NEXT) | instid1(VALU_DEP_1)
	v_cmp_gt_f32_e64 s0, |v30|, s7
	v_cndmask_b32_e64 v42, 0, 1, s0
	s_cbranch_vccz .LBB0_77
; %bb.76:                               ;   in Loop: Header=BB0_47 Depth=2
	global_store_b8 v[8:9], v7, off
	s_mov_b32 s1, 1
	s_mov_b32 s2, 2
	global_store_b8 v[28:29], v7, off
	v_mov_b32_e32 v41, s2
	v_mov_b32_e32 v43, s1
	s_cbranch_execz .LBB0_78
	s_branch .LBB0_113
.LBB0_77:                               ;   in Loop: Header=BB0_47 Depth=2
                                        ; implicit-def: $sgpr2
                                        ; implicit-def: $sgpr1
	v_mov_b32_e32 v41, s2
	v_mov_b32_e32 v43, s1
.LBB0_78:                               ;   in Loop: Header=BB0_47 Depth=2
	s_mov_b64 s[0:1], 0
.LBB0_79:                               ;   Parent Loop BB0_4 Depth=1
                                        ;     Parent Loop BB0_47 Depth=2
                                        ; =>    This Inner Loop Header: Depth=3
	s_delay_alu instid0(SALU_CYCLE_1)
	v_add_co_u32 v30, vcc_lo, v20, s0
	v_add_co_ci_u32_e32 v31, vcc_lo, s1, v21, vcc_lo
	s_add_u32 s0, s0, 1
	s_addc_u32 s1, s1, 0
	s_cmp_lg_u32 s4, s0
	global_store_b8 v[30:31], v36, off
	s_cbranch_scc1 .LBB0_79
; %bb.80:                               ;   in Loop: Header=BB0_47 Depth=2
	v_mov_b32_e32 v41, 2
	v_mov_b32_e32 v43, 1
	s_mov_b32 s8, 0
	s_mov_b32 s29, 0
	s_clause 0x1
	global_store_b8 v[8:9], v7, off
	global_store_b8 v[28:29], v7, off
	s_branch .LBB0_83
.LBB0_81:                               ;   in Loop: Header=BB0_83 Depth=3
	s_or_b32 exec_lo, exec_lo, s0
.LBB0_82:                               ;   in Loop: Header=BB0_83 Depth=3
	s_delay_alu instid0(SALU_CYCLE_1)
	s_or_b32 exec_lo, exec_lo, s30
	s_add_i32 s29, s29, 1
	s_add_i32 s8, s8, s5
	s_cmp_eq_u32 s29, s4
	s_cbranch_scc1 .LBB0_113
.LBB0_83:                               ;   Parent Loop BB0_4 Depth=1
                                        ;     Parent Loop BB0_47 Depth=2
                                        ; =>    This Loop Header: Depth=3
                                        ;         Child Loop BB0_86 Depth 4
                                        ;           Child Loop BB0_89 Depth 5
                                        ;           Child Loop BB0_92 Depth 5
	;; [unrolled: 1-line block ×4, first 2 shown]
	v_cmp_ne_u32_e32 vcc_lo, s29, v0
	v_cmp_ne_u32_e64 s0, s29, v1
	s_delay_alu instid0(VALU_DEP_1) | instskip(NEXT) | instid1(SALU_CYCLE_1)
	s_and_b32 s0, vcc_lo, s0
	s_and_saveexec_b32 s30, s0
	s_cbranch_execz .LBB0_82
; %bb.84:                               ;   in Loop: Header=BB0_83 Depth=3
	s_mov_b32 s9, s3
	v_dual_mov_b32 v44, 0 :: v_dual_mov_b32 v45, 0
	s_lshl_b64 s[0:1], s[8:9], 2
	s_mov_b32 s31, 0
	s_add_u32 s10, s12, s0
	s_addc_u32 s11, s13, s1
	s_mov_b32 s2, s31
	s_mov_b32 s9, 0
	s_branch .LBB0_86
.LBB0_85:                               ;   in Loop: Header=BB0_86 Depth=4
	s_or_b32 exec_lo, exec_lo, s1
	s_delay_alu instid0(SALU_CYCLE_1) | instskip(NEXT) | instid1(SALU_CYCLE_1)
	s_and_b32 s0, exec_lo, s33
	s_or_b32 s31, s0, s31
	s_delay_alu instid0(SALU_CYCLE_1)
	s_and_not1_b32 exec_lo, exec_lo, s31
	s_cbranch_execz .LBB0_111
.LBB0_86:                               ;   Parent Loop BB0_4 Depth=1
                                        ;     Parent Loop BB0_47 Depth=2
                                        ;       Parent Loop BB0_83 Depth=3
                                        ; =>      This Loop Header: Depth=4
                                        ;           Child Loop BB0_89 Depth 5
                                        ;           Child Loop BB0_92 Depth 5
	;; [unrolled: 1-line block ×4, first 2 shown]
	v_add_nc_u32_e32 v30, s9, v35
	s_mov_b32 s33, -1
	s_mov_b32 s0, -1
	s_mov_b32 s34, exec_lo
                                        ; implicit-def: $sgpr35
	s_delay_alu instid0(VALU_DEP_1) | instskip(SKIP_1) | instid1(VALU_DEP_2)
	v_ashrrev_i32_e32 v31, 31, v30
	v_add_co_u32 v30, vcc_lo, s14, v30
	v_add_co_ci_u32_e32 v31, vcc_lo, s15, v31, vcc_lo
	global_load_u8 v30, v[30:31], off
	s_waitcnt vmcnt(0)
	v_cmpx_eq_u16_e32 49, v30
	s_cbranch_execz .LBB0_109
; %bb.87:                               ;   in Loop: Header=BB0_86 Depth=4
	v_dual_mov_b32 v30, 0 :: v_dual_mov_b32 v31, 0
	s_and_not1_b32 vcc_lo, exec_lo, s16
	s_mov_b32 s35, 0
	s_cbranch_vccnz .LBB0_90
; %bb.88:                               ;   in Loop: Header=BB0_86 Depth=4
	v_dual_mov_b32 v30, 0 :: v_dual_mov_b32 v31, 0
	s_movk_i32 s36, 0x320
	s_mov_b64 s[0:1], s[10:11]
	.p2align	6
.LBB0_89:                               ;   Parent Loop BB0_4 Depth=1
                                        ;     Parent Loop BB0_47 Depth=2
                                        ;       Parent Loop BB0_83 Depth=3
                                        ;         Parent Loop BB0_86 Depth=4
                                        ; =>        This Inner Loop Header: Depth=5
	s_add_i32 s37, s26, s35
	s_add_i32 s35, s35, 1
	v_dual_mov_b32 v46, s37 :: v_dual_mov_b32 v47, s36
	s_load_b32 s37, s[0:1], 0x0
	s_add_i32 s36, s36, 4
	s_add_u32 s0, s0, 4
	ds_load_u8 v46, v46
	s_addc_u32 s1, s1, 0
	s_cmp_lg_u32 s6, s35
	s_waitcnt lgkmcnt(0)
	v_dual_add_f32 v48, s37, v31 :: v_dual_add_f32 v49, s37, v30
	v_cmp_eq_u16_e32 vcc_lo, 49, v46
	s_delay_alu instid0(VALU_DEP_2) | instskip(NEXT) | instid1(VALU_DEP_3)
	v_dual_mov_b32 v46, s37 :: v_dual_cndmask_b32 v31, v31, v48
	v_cndmask_b32_e32 v30, v49, v30, vcc_lo
	ds_store_b32 v47, v46
	s_cbranch_scc1 .LBB0_89
.LBB0_90:                               ;   in Loop: Header=BB0_86 Depth=4
	s_delay_alu instid0(VALU_DEP_1) | instskip(SKIP_2) | instid1(VALU_DEP_3)
	v_div_scale_f32 v46, null, v33, v33, v31
	v_div_scale_f32 v47, null, v40, v40, v30
	v_div_scale_f32 v52, vcc_lo, v31, v33, v31
	v_rcp_f32_e32 v48, v46
	s_delay_alu instid0(VALU_DEP_2) | instskip(SKIP_3) | instid1(VALU_DEP_1)
	v_rcp_f32_e32 v49, v47
	s_waitcnt_depctr 0xfff
	v_fma_f32 v50, -v46, v48, 1.0
	v_fma_f32 v51, -v47, v49, 1.0
	v_dual_fmac_f32 v48, v50, v48 :: v_dual_fmac_f32 v49, v51, v49
	v_div_scale_f32 v50, s0, v30, v40, v30
	s_delay_alu instid0(VALU_DEP_2) | instskip(NEXT) | instid1(VALU_DEP_2)
	v_mul_f32_e32 v51, v52, v48
	v_mul_f32_e32 v53, v50, v49
	s_delay_alu instid0(VALU_DEP_2) | instskip(NEXT) | instid1(VALU_DEP_2)
	v_fma_f32 v54, -v46, v51, v52
	v_fma_f32 v55, -v47, v53, v50
	s_delay_alu instid0(VALU_DEP_2) | instskip(NEXT) | instid1(VALU_DEP_2)
	v_fmac_f32_e32 v51, v54, v48
	v_fmac_f32_e32 v53, v55, v49
	s_delay_alu instid0(VALU_DEP_2) | instskip(NEXT) | instid1(VALU_DEP_2)
	v_fma_f32 v46, -v46, v51, v52
	v_fma_f32 v47, -v47, v53, v50
	s_delay_alu instid0(VALU_DEP_2)
	v_div_fmas_f32 v48, v46, v48, v51
	v_mov_b32_e32 v46, 0
	s_mov_b32 vcc_lo, s0
	s_mov_b32 s0, 0
	v_div_fmas_f32 v47, v47, v49, v53
	v_div_fixup_f32 v48, v48, v33, v31
	s_and_not1_b32 vcc_lo, exec_lo, s16
	s_delay_alu instid0(VALU_DEP_2)
	v_div_fixup_f32 v49, v47, v40, v30
	v_mov_b32_e32 v47, 0
	s_cbranch_vccnz .LBB0_93
; %bb.91:                               ;   in Loop: Header=BB0_86 Depth=4
	v_dual_mov_b32 v46, 0 :: v_dual_mov_b32 v47, 0
	s_movk_i32 s1, 0x320
	.p2align	6
.LBB0_92:                               ;   Parent Loop BB0_4 Depth=1
                                        ;     Parent Loop BB0_47 Depth=2
                                        ;       Parent Loop BB0_83 Depth=3
                                        ;         Parent Loop BB0_86 Depth=4
                                        ; =>        This Inner Loop Header: Depth=5
	s_add_i32 s35, s26, s0
	s_delay_alu instid0(SALU_CYCLE_1)
	v_dual_mov_b32 v30, s1 :: v_dual_mov_b32 v31, s35
	s_add_i32 s0, s0, 1
	s_add_i32 s1, s1, 4
	s_cmp_eq_u32 s6, s0
	ds_load_b32 v30, v30
	ds_load_u8 v31, v31
	s_waitcnt lgkmcnt(1)
	v_sub_f32_e32 v50, v48, v30
	v_sub_f32_e32 v30, v49, v30
	s_waitcnt lgkmcnt(0)
	v_cmp_eq_u16_e32 vcc_lo, 49, v31
	s_delay_alu instid0(VALU_DEP_3) | instskip(NEXT) | instid1(VALU_DEP_3)
	v_fma_f32 v50, v50, v50, v47
	v_fma_f32 v30, v30, v30, v46
	s_delay_alu instid0(VALU_DEP_2) | instskip(NEXT) | instid1(VALU_DEP_2)
	v_cndmask_b32_e32 v47, v47, v50, vcc_lo
	v_cndmask_b32_e32 v46, v30, v46, vcc_lo
	s_cbranch_scc0 .LBB0_92
.LBB0_93:                               ;   in Loop: Header=BB0_86 Depth=4
	v_dual_mov_b32 v30, 0 :: v_dual_mov_b32 v31, 0
	s_and_not1_b32 vcc_lo, exec_lo, s16
	s_mov_b32 s35, 0
	s_cbranch_vccnz .LBB0_96
; %bb.94:                               ;   in Loop: Header=BB0_86 Depth=4
	s_lshl_b64 s[0:1], s[2:3], 2
	v_dual_mov_b32 v30, 0 :: v_dual_mov_b32 v31, 0
	s_add_u32 s0, s12, s0
	s_addc_u32 s1, s13, s1
	s_mov_b32 s36, 0
	.p2align	6
.LBB0_95:                               ;   Parent Loop BB0_4 Depth=1
                                        ;     Parent Loop BB0_47 Depth=2
                                        ;       Parent Loop BB0_83 Depth=3
                                        ;         Parent Loop BB0_86 Depth=4
                                        ; =>        This Inner Loop Header: Depth=5
	s_delay_alu instid0(SALU_CYCLE_1)
	s_add_i32 s37, s26, s36
	s_add_i32 s36, s36, 1
	v_dual_mov_b32 v50, s37 :: v_dual_mov_b32 v51, s35
	s_load_b32 s37, s[0:1], 0x0
	s_add_i32 s35, s35, 4
	s_add_u32 s0, s0, 4
	ds_load_u8 v50, v50
	s_addc_u32 s1, s1, 0
	s_cmp_lg_u32 s6, s36
	s_waitcnt lgkmcnt(0)
	v_dual_add_f32 v52, s37, v31 :: v_dual_add_f32 v53, s37, v30
	v_cmp_eq_u16_e32 vcc_lo, 49, v50
	s_delay_alu instid0(VALU_DEP_2) | instskip(NEXT) | instid1(VALU_DEP_3)
	v_dual_mov_b32 v50, s37 :: v_dual_cndmask_b32 v31, v31, v52
	v_cndmask_b32_e32 v30, v53, v30, vcc_lo
	ds_store_b32 v51, v50
	s_cbranch_scc1 .LBB0_95
.LBB0_96:                               ;   in Loop: Header=BB0_86 Depth=4
	v_dual_mov_b32 v52, 0 :: v_dual_mov_b32 v53, 0
	v_dual_mov_b32 v50, 0 :: v_dual_mov_b32 v51, 0
	s_and_not1_b32 vcc_lo, exec_lo, s16
	s_mov_b32 s1, 0
	s_cbranch_vccnz .LBB0_104
; %bb.97:                               ;   in Loop: Header=BB0_86 Depth=4
	v_div_scale_f32 v50, null, v33, v33, v31
	v_div_scale_f32 v51, null, v40, v40, v30
	v_div_scale_f32 v56, vcc_lo, v31, v33, v31
	s_delay_alu instid0(VALU_DEP_3) | instskip(NEXT) | instid1(VALU_DEP_2)
	v_rcp_f32_e32 v52, v50
	v_rcp_f32_e32 v53, v51
	s_waitcnt_depctr 0xfff
	v_fma_f32 v54, -v50, v52, 1.0
	v_fma_f32 v55, -v51, v53, 1.0
	s_delay_alu instid0(VALU_DEP_1) | instskip(SKIP_1) | instid1(VALU_DEP_2)
	v_dual_fmac_f32 v52, v54, v52 :: v_dual_fmac_f32 v53, v55, v53
	v_div_scale_f32 v54, s0, v30, v40, v30
	v_mul_f32_e32 v55, v56, v52
	s_delay_alu instid0(VALU_DEP_2) | instskip(NEXT) | instid1(VALU_DEP_2)
	v_mul_f32_e32 v57, v54, v53
	v_fma_f32 v58, -v50, v55, v56
	s_delay_alu instid0(VALU_DEP_2) | instskip(NEXT) | instid1(VALU_DEP_2)
	v_fma_f32 v59, -v51, v57, v54
	v_fmac_f32_e32 v55, v58, v52
	s_delay_alu instid0(VALU_DEP_2) | instskip(NEXT) | instid1(VALU_DEP_2)
	v_fmac_f32_e32 v57, v59, v53
	v_fma_f32 v50, -v50, v55, v56
	v_mov_b32_e32 v56, 0
	s_delay_alu instid0(VALU_DEP_3) | instskip(NEXT) | instid1(VALU_DEP_3)
	v_fma_f32 v51, -v51, v57, v54
	v_div_fmas_f32 v50, v50, v52, v55
	s_mov_b32 vcc_lo, s0
	s_mov_b32 s0, 0
	s_delay_alu instid0(VALU_DEP_2) | instskip(SKIP_3) | instid1(VALU_DEP_4)
	v_div_fmas_f32 v51, v51, v53, v57
	v_mov_b32_e32 v57, 0
	v_mov_b32_e32 v53, 0
	v_div_fixup_f32 v54, v50, v33, v31
	v_div_fixup_f32 v55, v51, v40, v30
	v_mov_b32_e32 v51, 0
	s_set_inst_prefetch_distance 0x1
	.p2align	6
.LBB0_98:                               ;   Parent Loop BB0_4 Depth=1
                                        ;     Parent Loop BB0_47 Depth=2
                                        ;       Parent Loop BB0_83 Depth=3
                                        ;         Parent Loop BB0_86 Depth=4
                                        ; =>        This Inner Loop Header: Depth=5
	s_add_i32 s35, s26, s0
	s_waitcnt lgkmcnt(0)
	v_mov_b32_e32 v30, s35
	ds_load_u8 v50, v30
	v_mov_b32_e32 v30, s1
	ds_load_2addr_b32 v[30:31], v30 offset1:200
	s_waitcnt lgkmcnt(1)
	v_cmp_ne_u16_e32 vcc_lo, 49, v50
	s_cbranch_vccz .LBB0_100
; %bb.99:                               ;   in Loop: Header=BB0_98 Depth=5
	s_waitcnt lgkmcnt(0)
	v_sub_f32_e32 v50, v49, v31
	v_sub_f32_e32 v52, v55, v30
	s_delay_alu instid0(VALU_DEP_1)
	v_fma_f32 v50, v50, v52, v57
	v_fma_f32 v52, v52, v52, v56
	s_cbranch_execz .LBB0_101
	s_branch .LBB0_102
	.p2align	6
.LBB0_100:                              ;   in Loop: Header=BB0_98 Depth=5
                                        ; implicit-def: $vgpr52
                                        ; implicit-def: $vgpr50
.LBB0_101:                              ;   in Loop: Header=BB0_98 Depth=5
	s_waitcnt lgkmcnt(0)
	v_dual_sub_f32 v31, v48, v31 :: v_dual_sub_f32 v30, v54, v30
	v_mov_b32_e32 v50, v57
	s_delay_alu instid0(VALU_DEP_2)
	v_dual_mov_b32 v52, v56 :: v_dual_fmac_f32 v51, v31, v30
	v_fmac_f32_e32 v53, v30, v30
.LBB0_102:                              ;   in Loop: Header=BB0_98 Depth=5
	s_add_i32 s0, s0, 1
	s_add_i32 s1, s1, 4
	s_cmp_lg_u32 s6, s0
	s_cbranch_scc0 .LBB0_104
; %bb.103:                              ;   in Loop: Header=BB0_98 Depth=5
	v_dual_mov_b32 v56, v52 :: v_dual_mov_b32 v57, v50
	s_branch .LBB0_98
.LBB0_104:                              ;   in Loop: Header=BB0_86 Depth=4
	s_set_inst_prefetch_distance 0x2
	s_waitcnt lgkmcnt(0)
	v_dual_mul_f32 v30, 0x4f800000, v47 :: v_dual_mul_f32 v31, 0x4f800000, v53
	v_cmp_gt_f32_e32 vcc_lo, 0xf800000, v47
	v_cmp_gt_f32_e64 s0, 0xf800000, v53
	s_mov_b32 s35, 0
	s_mov_b32 s36, exec_lo
	v_cndmask_b32_e32 v30, v47, v30, vcc_lo
	s_delay_alu instid0(VALU_DEP_2) | instskip(NEXT) | instid1(VALU_DEP_2)
	v_cndmask_b32_e64 v31, v53, v31, s0
	v_sqrt_f32_e32 v47, v30
	s_delay_alu instid0(VALU_DEP_1)
	v_sqrt_f32_e32 v48, v31
	s_waitcnt_depctr 0xfff
	v_add_nc_u32_e32 v49, -1, v47
	v_add_nc_u32_e32 v53, -1, v48
	v_add_nc_u32_e32 v54, 1, v47
	v_add_nc_u32_e32 v55, 1, v48
	s_delay_alu instid0(VALU_DEP_4) | instskip(NEXT) | instid1(VALU_DEP_4)
	v_fma_f32 v56, -v49, v47, v30
	v_fma_f32 v57, -v53, v48, v31
	s_delay_alu instid0(VALU_DEP_4) | instskip(NEXT) | instid1(VALU_DEP_4)
	v_fma_f32 v58, -v54, v47, v30
	v_fma_f32 v59, -v55, v48, v31
	s_delay_alu instid0(VALU_DEP_4) | instskip(NEXT) | instid1(VALU_DEP_1)
	v_cmp_ge_f32_e64 s1, 0, v56
	v_cndmask_b32_e64 v47, v47, v49, s1
	v_cmp_ge_f32_e64 s1, 0, v57
	s_delay_alu instid0(VALU_DEP_1) | instskip(SKIP_1) | instid1(VALU_DEP_1)
	v_cndmask_b32_e64 v48, v48, v53, s1
	v_cmp_lt_f32_e64 s1, 0, v58
	v_cndmask_b32_e64 v47, v47, v54, s1
	v_cmp_lt_f32_e64 s1, 0, v59
	s_delay_alu instid0(VALU_DEP_2) | instskip(NEXT) | instid1(VALU_DEP_2)
	v_mul_f32_e32 v49, 0x37800000, v47
	v_cndmask_b32_e64 v48, v48, v55, s1
	s_delay_alu instid0(VALU_DEP_2) | instskip(NEXT) | instid1(VALU_DEP_2)
	v_cndmask_b32_e32 v47, v47, v49, vcc_lo
	v_mul_f32_e32 v53, 0x37800000, v48
	v_cmp_class_f32_e64 vcc_lo, v30, 0x260
	s_delay_alu instid0(VALU_DEP_2) | instskip(NEXT) | instid1(VALU_DEP_4)
	v_cndmask_b32_e64 v48, v48, v53, s0
	v_cndmask_b32_e32 v30, v47, v30, vcc_lo
	v_cmp_class_f32_e64 vcc_lo, v31, 0x260
	s_mov_b32 s0, 0
	s_delay_alu instid0(VALU_DEP_3) | instskip(NEXT) | instid1(VALU_DEP_1)
	v_cndmask_b32_e32 v31, v48, v31, vcc_lo
	v_mul_f32_e32 v30, v30, v31
	s_delay_alu instid0(VALU_DEP_1) | instskip(NEXT) | instid1(VALU_DEP_1)
	v_div_scale_f32 v31, null, v30, v30, v51
	v_rcp_f32_e32 v47, v31
	s_waitcnt_depctr 0xfff
	v_fma_f32 v48, -v31, v47, 1.0
	s_delay_alu instid0(VALU_DEP_1) | instskip(SKIP_1) | instid1(VALU_DEP_1)
	v_fmac_f32_e32 v47, v48, v47
	v_div_scale_f32 v48, vcc_lo, v51, v30, v51
	v_mul_f32_e32 v49, v48, v47
	s_delay_alu instid0(VALU_DEP_1) | instskip(NEXT) | instid1(VALU_DEP_1)
	v_fma_f32 v53, -v31, v49, v48
	v_fmac_f32_e32 v49, v53, v47
	s_delay_alu instid0(VALU_DEP_1) | instskip(NEXT) | instid1(VALU_DEP_1)
	v_fma_f32 v31, -v31, v49, v48
	v_div_fmas_f32 v31, v31, v47, v49
	s_delay_alu instid0(VALU_DEP_1) | instskip(NEXT) | instid1(VALU_DEP_1)
	v_div_fixup_f32 v30, v31, v30, v51
	v_cmpx_gt_f32_e64 |v30|, s7
	s_cbranch_execz .LBB0_108
; %bb.105:                              ;   in Loop: Header=BB0_86 Depth=4
	v_dual_mul_f32 v30, 0x4f800000, v46 :: v_dual_mul_f32 v31, 0x4f800000, v52
	v_cmp_gt_f32_e64 s0, 0xf800000, v52
	v_cmp_gt_f32_e32 vcc_lo, 0xf800000, v46
	s_delay_alu instid0(VALU_DEP_2) | instskip(NEXT) | instid1(VALU_DEP_1)
	v_cndmask_b32_e64 v31, v52, v31, s0
	v_sqrt_f32_e32 v47, v31
	s_waitcnt_depctr 0xfff
	v_dual_cndmask_b32 v30, v46, v30 :: v_dual_add_nc_u32 v49, -1, v47
	s_delay_alu instid0(VALU_DEP_1) | instskip(SKIP_1) | instid1(VALU_DEP_2)
	v_sqrt_f32_e32 v46, v30
	v_add_nc_u32_e32 v52, 1, v47
	v_fma_f32 v54, -v49, v47, v31
	s_delay_alu instid0(VALU_DEP_2) | instskip(SKIP_3) | instid1(VALU_DEP_2)
	v_fma_f32 v56, -v52, v47, v31
	s_waitcnt_depctr 0xfff
	v_add_nc_u32_e32 v48, -1, v46
	v_add_nc_u32_e32 v51, 1, v46
	v_fma_f32 v53, -v48, v46, v30
	s_delay_alu instid0(VALU_DEP_2) | instskip(NEXT) | instid1(VALU_DEP_2)
	v_fma_f32 v55, -v51, v46, v30
	v_cmp_ge_f32_e64 s1, 0, v53
	s_delay_alu instid0(VALU_DEP_1) | instskip(SKIP_1) | instid1(VALU_DEP_1)
	v_cndmask_b32_e64 v46, v46, v48, s1
	v_cmp_ge_f32_e64 s1, 0, v54
	v_cndmask_b32_e64 v47, v47, v49, s1
	v_cmp_lt_f32_e64 s1, 0, v55
	s_delay_alu instid0(VALU_DEP_1) | instskip(SKIP_1) | instid1(VALU_DEP_1)
	v_cndmask_b32_e64 v46, v46, v51, s1
	v_cmp_lt_f32_e64 s1, 0, v56
	v_cndmask_b32_e64 v47, v47, v52, s1
	s_delay_alu instid0(VALU_DEP_1) | instskip(NEXT) | instid1(VALU_DEP_1)
	v_mul_f32_e32 v49, 0x37800000, v47
	v_cndmask_b32_e64 v47, v47, v49, s0
	v_mul_f32_e32 v48, 0x37800000, v46
	s_mov_b32 s0, exec_lo
	s_delay_alu instid0(VALU_DEP_1) | instskip(SKIP_1) | instid1(VALU_DEP_2)
	v_cndmask_b32_e32 v46, v46, v48, vcc_lo
	v_cmp_class_f32_e64 vcc_lo, v30, 0x260
	v_cndmask_b32_e32 v30, v46, v30, vcc_lo
	v_cmp_class_f32_e64 vcc_lo, v31, 0x260
	v_cndmask_b32_e32 v31, v47, v31, vcc_lo
	s_delay_alu instid0(VALU_DEP_1) | instskip(NEXT) | instid1(VALU_DEP_1)
	v_mul_f32_e32 v30, v30, v31
	v_div_scale_f32 v31, null, v30, v30, v50
	s_delay_alu instid0(VALU_DEP_1) | instskip(SKIP_2) | instid1(VALU_DEP_1)
	v_rcp_f32_e32 v46, v31
	s_waitcnt_depctr 0xfff
	v_fma_f32 v47, -v31, v46, 1.0
	v_fmac_f32_e32 v46, v47, v46
	v_div_scale_f32 v47, vcc_lo, v50, v30, v50
	s_delay_alu instid0(VALU_DEP_1) | instskip(NEXT) | instid1(VALU_DEP_1)
	v_mul_f32_e32 v48, v47, v46
	v_fma_f32 v49, -v31, v48, v47
	s_delay_alu instid0(VALU_DEP_1) | instskip(NEXT) | instid1(VALU_DEP_1)
	v_fmac_f32_e32 v48, v49, v46
	v_fma_f32 v31, -v31, v48, v47
	s_delay_alu instid0(VALU_DEP_1) | instskip(NEXT) | instid1(VALU_DEP_1)
	v_div_fmas_f32 v31, v31, v46, v48
	v_div_fixup_f32 v30, v31, v30, v50
	s_delay_alu instid0(VALU_DEP_1)
	v_cmpx_gt_f32_e64 |v30|, s7
; %bb.106:                              ;   in Loop: Header=BB0_86 Depth=4
	v_add_nc_u32_e32 v44, 1, v44
; %bb.107:                              ;   in Loop: Header=BB0_86 Depth=4
	s_or_b32 exec_lo, exec_lo, s0
	v_add_nc_u32_e32 v45, 1, v45
	s_mov_b32 s0, exec_lo
.LBB0_108:                              ;   in Loop: Header=BB0_86 Depth=4
	s_or_b32 exec_lo, exec_lo, s36
	s_delay_alu instid0(SALU_CYCLE_1)
	s_or_not1_b32 s0, s0, exec_lo
.LBB0_109:                              ;   in Loop: Header=BB0_86 Depth=4
	s_or_b32 exec_lo, exec_lo, s34
	v_mov_b32_e32 v30, s35
	s_and_saveexec_b32 s1, s0
	s_cbranch_execz .LBB0_85
; %bb.110:                              ;   in Loop: Header=BB0_86 Depth=4
	s_add_i32 s9, s9, 1
	s_add_i32 s2, s2, s5
	s_cmp_eq_u32 s9, s4
	v_mov_b32_e32 v30, v45
	s_cselect_b32 s0, -1, 0
	s_delay_alu instid0(SALU_CYCLE_1)
	s_or_not1_b32 s33, s0, exec_lo
	s_branch .LBB0_85
.LBB0_111:                              ;   in Loop: Header=BB0_83 Depth=3
	s_or_b32 exec_lo, exec_lo, s31
	s_delay_alu instid0(SALU_CYCLE_1)
	s_mov_b32 s0, exec_lo
	v_cmpx_lt_i32_e32 0, v30
	s_cbranch_execz .LBB0_81
; %bb.112:                              ;   in Loop: Header=BB0_83 Depth=3
	v_add_nc_u32_e32 v31, s29, v35
	v_add_nc_u32_e32 v42, v44, v42
	;; [unrolled: 1-line block ×4, first 2 shown]
	s_delay_alu instid0(VALU_DEP_4) | instskip(SKIP_1) | instid1(VALU_DEP_2)
	v_ashrrev_i32_e32 v44, 31, v31
	v_add_co_u32 v30, vcc_lo, s14, v31
	v_add_co_ci_u32_e32 v31, vcc_lo, s15, v44, vcc_lo
	global_store_b8 v[30:31], v7, off
	s_branch .LBB0_81
.LBB0_113:                              ;   in Loop: Header=BB0_47 Depth=2
	v_cvt_f32_i32_e32 v30, v42
	s_delay_alu instid0(VALU_DEP_2) | instskip(SKIP_1) | instid1(VALU_DEP_1)
	v_cvt_f32_u32_e32 v31, v43
	s_mov_b32 s0, exec_lo
	v_div_scale_f32 v33, null, v31, v31, v30
	s_delay_alu instid0(VALU_DEP_1) | instskip(SKIP_2) | instid1(VALU_DEP_1)
	v_rcp_f32_e32 v40, v33
	s_waitcnt_depctr 0xfff
	v_fma_f32 v42, -v33, v40, 1.0
	v_fmac_f32_e32 v40, v42, v40
	v_div_scale_f32 v42, vcc_lo, v30, v31, v30
	s_delay_alu instid0(VALU_DEP_1) | instskip(NEXT) | instid1(VALU_DEP_1)
	v_mul_f32_e32 v43, v42, v40
	v_fma_f32 v44, -v33, v43, v42
	s_delay_alu instid0(VALU_DEP_1) | instskip(NEXT) | instid1(VALU_DEP_1)
	v_fmac_f32_e32 v43, v44, v40
	v_fma_f32 v33, -v33, v43, v42
	s_delay_alu instid0(VALU_DEP_1) | instskip(NEXT) | instid1(VALU_DEP_1)
	v_div_fmas_f32 v33, v33, v40, v43
	v_div_fixup_f32 v40, v33, v31, v30
	s_delay_alu instid0(VALU_DEP_1)
	v_cmpx_gt_f32_e32 0x3c23d70a, v40
	s_cbranch_execz .LBB0_44
; %bb.114:                              ;   in Loop: Header=BB0_47 Depth=2
	v_max_i32_e32 v30, 10, v32
	s_mov_b32 s1, exec_lo
	s_delay_alu instid0(VALU_DEP_1)
	v_cmpx_lt_i32_e64 v30, v41
	s_cbranch_execz .LBB0_43
; %bb.115:                              ;   in Loop: Header=BB0_47 Depth=2
	v_dual_mov_b32 v31, v23 :: v_dual_mov_b32 v30, v22
	v_dual_mov_b32 v33, v21 :: v_dual_mov_b32 v32, v20
	s_and_not1_b32 vcc_lo, exec_lo, s17
	s_mov_b32 s2, s4
	global_store_b32 v[2:3], v40, off
	s_cbranch_vccnz .LBB0_117
.LBB0_116:                              ;   Parent Loop BB0_4 Depth=1
                                        ;     Parent Loop BB0_47 Depth=2
                                        ; =>    This Inner Loop Header: Depth=3
	global_load_u8 v40, v[32:33], off
	v_add_co_u32 v32, vcc_lo, v32, 1
	v_add_co_ci_u32_e32 v33, vcc_lo, 0, v33, vcc_lo
	s_add_i32 s2, s2, -1
	s_delay_alu instid0(SALU_CYCLE_1)
	s_cmp_eq_u32 s2, 0
	s_waitcnt vmcnt(0)
	global_store_b8 v[30:31], v40, off
	v_add_co_u32 v30, vcc_lo, v30, 1
	v_add_co_ci_u32_e32 v31, vcc_lo, 0, v31, vcc_lo
	s_cbranch_scc0 .LBB0_116
.LBB0_117:                              ;   in Loop: Header=BB0_47 Depth=2
	v_dual_mov_b32 v31, v25 :: v_dual_mov_b32 v30, v24
	v_dual_mov_b32 v33, v19 :: v_dual_mov_b32 v32, v18
	s_and_not1_b32 vcc_lo, exec_lo, s16
	s_mov_b32 s2, s6
	s_cbranch_vccnz .LBB0_42
.LBB0_118:                              ;   Parent Loop BB0_4 Depth=1
                                        ;     Parent Loop BB0_47 Depth=2
                                        ; =>    This Inner Loop Header: Depth=3
	global_load_u8 v40, v[32:33], off
	v_add_co_u32 v32, vcc_lo, v32, 1
	v_add_co_ci_u32_e32 v33, vcc_lo, 0, v33, vcc_lo
	s_add_i32 s2, s2, -1
	s_delay_alu instid0(SALU_CYCLE_1)
	s_cmp_lg_u32 s2, 0
	s_waitcnt vmcnt(0)
	global_store_b8 v[30:31], v40, off
	v_add_co_u32 v30, vcc_lo, v30, 1
	v_add_co_ci_u32_e32 v31, vcc_lo, 0, v31, vcc_lo
	s_cbranch_scc1 .LBB0_118
	s_branch .LBB0_42
.LBB0_119:
	s_nop 0
	s_sendmsg sendmsg(MSG_DEALLOC_VGPRS)
	s_endpgm
	.section	.rodata,"a",@progbits
	.p2align	6, 0x0
	.amdhsa_kernel _Z17compute_biclusterPKfiiifPcS1_PfPiS3_S1_S1_
		.amdhsa_group_segment_fixed_size 2200
		.amdhsa_private_segment_fixed_size 0
		.amdhsa_kernarg_size 336
		.amdhsa_user_sgpr_count 15
		.amdhsa_user_sgpr_dispatch_ptr 0
		.amdhsa_user_sgpr_queue_ptr 0
		.amdhsa_user_sgpr_kernarg_segment_ptr 1
		.amdhsa_user_sgpr_dispatch_id 0
		.amdhsa_user_sgpr_private_segment_size 0
		.amdhsa_wavefront_size32 1
		.amdhsa_uses_dynamic_stack 0
		.amdhsa_enable_private_segment 0
		.amdhsa_system_sgpr_workgroup_id_x 1
		.amdhsa_system_sgpr_workgroup_id_y 0
		.amdhsa_system_sgpr_workgroup_id_z 0
		.amdhsa_system_sgpr_workgroup_info 0
		.amdhsa_system_vgpr_workitem_id 0
		.amdhsa_next_free_vgpr 60
		.amdhsa_next_free_sgpr 38
		.amdhsa_reserve_vcc 1
		.amdhsa_float_round_mode_32 0
		.amdhsa_float_round_mode_16_64 0
		.amdhsa_float_denorm_mode_32 3
		.amdhsa_float_denorm_mode_16_64 3
		.amdhsa_dx10_clamp 1
		.amdhsa_ieee_mode 1
		.amdhsa_fp16_overflow 0
		.amdhsa_workgroup_processor_mode 1
		.amdhsa_memory_ordered 1
		.amdhsa_forward_progress 0
		.amdhsa_shared_vgpr_count 0
		.amdhsa_exception_fp_ieee_invalid_op 0
		.amdhsa_exception_fp_denorm_src 0
		.amdhsa_exception_fp_ieee_div_zero 0
		.amdhsa_exception_fp_ieee_overflow 0
		.amdhsa_exception_fp_ieee_underflow 0
		.amdhsa_exception_fp_ieee_inexact 0
		.amdhsa_exception_int_div_zero 0
	.end_amdhsa_kernel
	.text
.Lfunc_end0:
	.size	_Z17compute_biclusterPKfiiifPcS1_PfPiS3_S1_S1_, .Lfunc_end0-_Z17compute_biclusterPKfiiifPcS1_PfPiS3_S1_S1_
                                        ; -- End function
	.section	.AMDGPU.csdata,"",@progbits
; Kernel info:
; codeLenInByte = 6148
; NumSgprs: 40
; NumVgprs: 60
; ScratchSize: 0
; MemoryBound: 0
; FloatMode: 240
; IeeeMode: 1
; LDSByteSize: 2200 bytes/workgroup (compile time only)
; SGPRBlocks: 4
; VGPRBlocks: 7
; NumSGPRsForWavesPerEU: 40
; NumVGPRsForWavesPerEU: 60
; Occupancy: 16
; WaveLimiterHint : 0
; COMPUTE_PGM_RSRC2:SCRATCH_EN: 0
; COMPUTE_PGM_RSRC2:USER_SGPR: 15
; COMPUTE_PGM_RSRC2:TRAP_HANDLER: 0
; COMPUTE_PGM_RSRC2:TGID_X_EN: 1
; COMPUTE_PGM_RSRC2:TGID_Y_EN: 0
; COMPUTE_PGM_RSRC2:TGID_Z_EN: 0
; COMPUTE_PGM_RSRC2:TIDIG_COMP_CNT: 0
	.text
	.p2alignl 7, 3214868480
	.fill 96, 4, 3214868480
	.type	__hip_cuid_4c6b7c83aa5af7da,@object ; @__hip_cuid_4c6b7c83aa5af7da
	.section	.bss,"aw",@nobits
	.globl	__hip_cuid_4c6b7c83aa5af7da
__hip_cuid_4c6b7c83aa5af7da:
	.byte	0                               ; 0x0
	.size	__hip_cuid_4c6b7c83aa5af7da, 1

	.ident	"AMD clang version 19.0.0git (https://github.com/RadeonOpenCompute/llvm-project roc-6.4.0 25133 c7fe45cf4b819c5991fe208aaa96edf142730f1d)"
	.section	".note.GNU-stack","",@progbits
	.addrsig
	.addrsig_sym __hip_cuid_4c6b7c83aa5af7da
	.amdgpu_metadata
---
amdhsa.kernels:
  - .args:
      - .actual_access:  read_only
        .address_space:  global
        .offset:         0
        .size:           8
        .value_kind:     global_buffer
      - .offset:         8
        .size:           4
        .value_kind:     by_value
      - .offset:         12
        .size:           4
        .value_kind:     by_value
      - .offset:         16
        .size:           4
        .value_kind:     by_value
      - .offset:         20
        .size:           4
        .value_kind:     by_value
      - .actual_access:  write_only
        .address_space:  global
        .offset:         24
        .size:           8
        .value_kind:     global_buffer
      - .actual_access:  write_only
        .address_space:  global
        .offset:         32
        .size:           8
        .value_kind:     global_buffer
      - .actual_access:  write_only
        .address_space:  global
        .offset:         40
        .size:           8
        .value_kind:     global_buffer
      - .actual_access:  write_only
        .address_space:  global
        .offset:         48
        .size:           8
        .value_kind:     global_buffer
      - .actual_access:  write_only
        .address_space:  global
        .offset:         56
        .size:           8
        .value_kind:     global_buffer
      - .address_space:  global
        .offset:         64
        .size:           8
        .value_kind:     global_buffer
      - .address_space:  global
        .offset:         72
        .size:           8
        .value_kind:     global_buffer
      - .offset:         80
        .size:           4
        .value_kind:     hidden_block_count_x
      - .offset:         84
        .size:           4
        .value_kind:     hidden_block_count_y
      - .offset:         88
        .size:           4
        .value_kind:     hidden_block_count_z
      - .offset:         92
        .size:           2
        .value_kind:     hidden_group_size_x
      - .offset:         94
        .size:           2
        .value_kind:     hidden_group_size_y
      - .offset:         96
        .size:           2
        .value_kind:     hidden_group_size_z
      - .offset:         98
        .size:           2
        .value_kind:     hidden_remainder_x
      - .offset:         100
        .size:           2
        .value_kind:     hidden_remainder_y
      - .offset:         102
        .size:           2
        .value_kind:     hidden_remainder_z
      - .offset:         120
        .size:           8
        .value_kind:     hidden_global_offset_x
      - .offset:         128
        .size:           8
        .value_kind:     hidden_global_offset_y
      - .offset:         136
        .size:           8
        .value_kind:     hidden_global_offset_z
      - .offset:         144
        .size:           2
        .value_kind:     hidden_grid_dims
    .group_segment_fixed_size: 2200
    .kernarg_segment_align: 8
    .kernarg_segment_size: 336
    .language:       OpenCL C
    .language_version:
      - 2
      - 0
    .max_flat_workgroup_size: 1024
    .name:           _Z17compute_biclusterPKfiiifPcS1_PfPiS3_S1_S1_
    .private_segment_fixed_size: 0
    .sgpr_count:     40
    .sgpr_spill_count: 0
    .symbol:         _Z17compute_biclusterPKfiiifPcS1_PfPiS3_S1_S1_.kd
    .uniform_work_group_size: 1
    .uses_dynamic_stack: false
    .vgpr_count:     60
    .vgpr_spill_count: 0
    .wavefront_size: 32
    .workgroup_processor_mode: 1
amdhsa.target:   amdgcn-amd-amdhsa--gfx1100
amdhsa.version:
  - 1
  - 2
...

	.end_amdgpu_metadata
